;; amdgpu-corpus repo=ROCm/rocFFT kind=compiled arch=gfx1030 opt=O3
	.text
	.amdgcn_target "amdgcn-amd-amdhsa--gfx1030"
	.amdhsa_code_object_version 6
	.protected	fft_rtc_back_len1728_factors_3_6_6_16_wgs_108_tpt_108_halfLds_sp_ip_CI_unitstride_sbrr_dirReg ; -- Begin function fft_rtc_back_len1728_factors_3_6_6_16_wgs_108_tpt_108_halfLds_sp_ip_CI_unitstride_sbrr_dirReg
	.globl	fft_rtc_back_len1728_factors_3_6_6_16_wgs_108_tpt_108_halfLds_sp_ip_CI_unitstride_sbrr_dirReg
	.p2align	8
	.type	fft_rtc_back_len1728_factors_3_6_6_16_wgs_108_tpt_108_halfLds_sp_ip_CI_unitstride_sbrr_dirReg,@function
fft_rtc_back_len1728_factors_3_6_6_16_wgs_108_tpt_108_halfLds_sp_ip_CI_unitstride_sbrr_dirReg: ; @fft_rtc_back_len1728_factors_3_6_6_16_wgs_108_tpt_108_halfLds_sp_ip_CI_unitstride_sbrr_dirReg
; %bb.0:
	s_clause 0x2
	s_load_dwordx4 s[8:11], s[4:5], 0x0
	s_load_dwordx2 s[2:3], s[4:5], 0x50
	s_load_dwordx2 s[12:13], s[4:5], 0x18
	v_mul_u32_u24_e32 v1, 0x25f, v0
	v_mov_b32_e32 v3, 0
	v_add_nc_u32_sdwa v5, s6, v1 dst_sel:DWORD dst_unused:UNUSED_PAD src0_sel:DWORD src1_sel:WORD_1
	v_mov_b32_e32 v1, 0
	v_mov_b32_e32 v6, v3
	v_mov_b32_e32 v2, 0
	s_waitcnt lgkmcnt(0)
	v_cmp_lt_u64_e64 s0, s[10:11], 2
	s_and_b32 vcc_lo, exec_lo, s0
	s_cbranch_vccnz .LBB0_8
; %bb.1:
	s_load_dwordx2 s[0:1], s[4:5], 0x10
	v_mov_b32_e32 v1, 0
	s_add_u32 s6, s12, 8
	v_mov_b32_e32 v2, 0
	s_addc_u32 s7, s13, 0
	s_mov_b64 s[16:17], 1
	s_waitcnt lgkmcnt(0)
	s_add_u32 s14, s0, 8
	s_addc_u32 s15, s1, 0
.LBB0_2:                                ; =>This Inner Loop Header: Depth=1
	s_load_dwordx2 s[18:19], s[14:15], 0x0
                                        ; implicit-def: $vgpr7_vgpr8
	s_mov_b32 s0, exec_lo
	s_waitcnt lgkmcnt(0)
	v_or_b32_e32 v4, s19, v6
	v_cmpx_ne_u64_e32 0, v[3:4]
	s_xor_b32 s1, exec_lo, s0
	s_cbranch_execz .LBB0_4
; %bb.3:                                ;   in Loop: Header=BB0_2 Depth=1
	v_cvt_f32_u32_e32 v4, s18
	v_cvt_f32_u32_e32 v7, s19
	s_sub_u32 s0, 0, s18
	s_subb_u32 s20, 0, s19
	v_fmac_f32_e32 v4, 0x4f800000, v7
	v_rcp_f32_e32 v4, v4
	v_mul_f32_e32 v4, 0x5f7ffffc, v4
	v_mul_f32_e32 v7, 0x2f800000, v4
	v_trunc_f32_e32 v7, v7
	v_fmac_f32_e32 v4, 0xcf800000, v7
	v_cvt_u32_f32_e32 v7, v7
	v_cvt_u32_f32_e32 v4, v4
	v_mul_lo_u32 v8, s0, v7
	v_mul_hi_u32 v9, s0, v4
	v_mul_lo_u32 v10, s20, v4
	v_add_nc_u32_e32 v8, v9, v8
	v_mul_lo_u32 v9, s0, v4
	v_add_nc_u32_e32 v8, v8, v10
	v_mul_hi_u32 v10, v4, v9
	v_mul_lo_u32 v11, v4, v8
	v_mul_hi_u32 v12, v4, v8
	v_mul_hi_u32 v13, v7, v9
	v_mul_lo_u32 v9, v7, v9
	v_mul_hi_u32 v14, v7, v8
	v_mul_lo_u32 v8, v7, v8
	v_add_co_u32 v10, vcc_lo, v10, v11
	v_add_co_ci_u32_e32 v11, vcc_lo, 0, v12, vcc_lo
	v_add_co_u32 v9, vcc_lo, v10, v9
	v_add_co_ci_u32_e32 v9, vcc_lo, v11, v13, vcc_lo
	v_add_co_ci_u32_e32 v10, vcc_lo, 0, v14, vcc_lo
	v_add_co_u32 v8, vcc_lo, v9, v8
	v_add_co_ci_u32_e32 v9, vcc_lo, 0, v10, vcc_lo
	v_add_co_u32 v4, vcc_lo, v4, v8
	v_add_co_ci_u32_e32 v7, vcc_lo, v7, v9, vcc_lo
	v_mul_hi_u32 v8, s0, v4
	v_mul_lo_u32 v10, s20, v4
	v_mul_lo_u32 v9, s0, v7
	v_add_nc_u32_e32 v8, v8, v9
	v_mul_lo_u32 v9, s0, v4
	v_add_nc_u32_e32 v8, v8, v10
	v_mul_hi_u32 v10, v4, v9
	v_mul_lo_u32 v11, v4, v8
	v_mul_hi_u32 v12, v4, v8
	v_mul_hi_u32 v13, v7, v9
	v_mul_lo_u32 v9, v7, v9
	v_mul_hi_u32 v14, v7, v8
	v_mul_lo_u32 v8, v7, v8
	v_add_co_u32 v10, vcc_lo, v10, v11
	v_add_co_ci_u32_e32 v11, vcc_lo, 0, v12, vcc_lo
	v_add_co_u32 v9, vcc_lo, v10, v9
	v_add_co_ci_u32_e32 v9, vcc_lo, v11, v13, vcc_lo
	v_add_co_ci_u32_e32 v10, vcc_lo, 0, v14, vcc_lo
	v_add_co_u32 v8, vcc_lo, v9, v8
	v_add_co_ci_u32_e32 v9, vcc_lo, 0, v10, vcc_lo
	v_add_co_u32 v4, vcc_lo, v4, v8
	v_add_co_ci_u32_e32 v11, vcc_lo, v7, v9, vcc_lo
	v_mul_hi_u32 v13, v5, v4
	v_mad_u64_u32 v[9:10], null, v6, v4, 0
	v_mad_u64_u32 v[7:8], null, v5, v11, 0
	;; [unrolled: 1-line block ×3, first 2 shown]
	v_add_co_u32 v4, vcc_lo, v13, v7
	v_add_co_ci_u32_e32 v7, vcc_lo, 0, v8, vcc_lo
	v_add_co_u32 v4, vcc_lo, v4, v9
	v_add_co_ci_u32_e32 v4, vcc_lo, v7, v10, vcc_lo
	v_add_co_ci_u32_e32 v7, vcc_lo, 0, v12, vcc_lo
	v_add_co_u32 v4, vcc_lo, v4, v11
	v_add_co_ci_u32_e32 v9, vcc_lo, 0, v7, vcc_lo
	v_mul_lo_u32 v10, s19, v4
	v_mad_u64_u32 v[7:8], null, s18, v4, 0
	v_mul_lo_u32 v11, s18, v9
	v_sub_co_u32 v7, vcc_lo, v5, v7
	v_add3_u32 v8, v8, v11, v10
	v_sub_nc_u32_e32 v10, v6, v8
	v_subrev_co_ci_u32_e64 v10, s0, s19, v10, vcc_lo
	v_add_co_u32 v11, s0, v4, 2
	v_add_co_ci_u32_e64 v12, s0, 0, v9, s0
	v_sub_co_u32 v13, s0, v7, s18
	v_sub_co_ci_u32_e32 v8, vcc_lo, v6, v8, vcc_lo
	v_subrev_co_ci_u32_e64 v10, s0, 0, v10, s0
	v_cmp_le_u32_e32 vcc_lo, s18, v13
	v_cmp_eq_u32_e64 s0, s19, v8
	v_cndmask_b32_e64 v13, 0, -1, vcc_lo
	v_cmp_le_u32_e32 vcc_lo, s19, v10
	v_cndmask_b32_e64 v14, 0, -1, vcc_lo
	v_cmp_le_u32_e32 vcc_lo, s18, v7
	;; [unrolled: 2-line block ×3, first 2 shown]
	v_cndmask_b32_e64 v15, 0, -1, vcc_lo
	v_cmp_eq_u32_e32 vcc_lo, s19, v10
	v_cndmask_b32_e64 v7, v15, v7, s0
	v_cndmask_b32_e32 v10, v14, v13, vcc_lo
	v_add_co_u32 v13, vcc_lo, v4, 1
	v_add_co_ci_u32_e32 v14, vcc_lo, 0, v9, vcc_lo
	v_cmp_ne_u32_e32 vcc_lo, 0, v10
	v_cndmask_b32_e32 v8, v14, v12, vcc_lo
	v_cndmask_b32_e32 v10, v13, v11, vcc_lo
	v_cmp_ne_u32_e32 vcc_lo, 0, v7
	v_cndmask_b32_e32 v8, v9, v8, vcc_lo
	v_cndmask_b32_e32 v7, v4, v10, vcc_lo
.LBB0_4:                                ;   in Loop: Header=BB0_2 Depth=1
	s_andn2_saveexec_b32 s0, s1
	s_cbranch_execz .LBB0_6
; %bb.5:                                ;   in Loop: Header=BB0_2 Depth=1
	v_cvt_f32_u32_e32 v4, s18
	s_sub_i32 s1, 0, s18
	v_rcp_iflag_f32_e32 v4, v4
	v_mul_f32_e32 v4, 0x4f7ffffe, v4
	v_cvt_u32_f32_e32 v4, v4
	v_mul_lo_u32 v7, s1, v4
	v_mul_hi_u32 v7, v4, v7
	v_add_nc_u32_e32 v4, v4, v7
	v_mul_hi_u32 v4, v5, v4
	v_mul_lo_u32 v7, v4, s18
	v_add_nc_u32_e32 v8, 1, v4
	v_sub_nc_u32_e32 v7, v5, v7
	v_subrev_nc_u32_e32 v9, s18, v7
	v_cmp_le_u32_e32 vcc_lo, s18, v7
	v_cndmask_b32_e32 v7, v7, v9, vcc_lo
	v_cndmask_b32_e32 v4, v4, v8, vcc_lo
	v_cmp_le_u32_e32 vcc_lo, s18, v7
	v_add_nc_u32_e32 v8, 1, v4
	v_cndmask_b32_e32 v7, v4, v8, vcc_lo
	v_mov_b32_e32 v8, v3
.LBB0_6:                                ;   in Loop: Header=BB0_2 Depth=1
	s_or_b32 exec_lo, exec_lo, s0
	s_load_dwordx2 s[0:1], s[6:7], 0x0
	v_mul_lo_u32 v4, v8, s18
	v_mul_lo_u32 v11, v7, s19
	v_mad_u64_u32 v[9:10], null, v7, s18, 0
	s_add_u32 s16, s16, 1
	s_addc_u32 s17, s17, 0
	s_add_u32 s6, s6, 8
	s_addc_u32 s7, s7, 0
	;; [unrolled: 2-line block ×3, first 2 shown]
	v_add3_u32 v4, v10, v11, v4
	v_sub_co_u32 v5, vcc_lo, v5, v9
	v_sub_co_ci_u32_e32 v4, vcc_lo, v6, v4, vcc_lo
	s_waitcnt lgkmcnt(0)
	v_mul_lo_u32 v6, s1, v5
	v_mul_lo_u32 v4, s0, v4
	v_mad_u64_u32 v[1:2], null, s0, v5, v[1:2]
	v_cmp_ge_u64_e64 s0, s[16:17], s[10:11]
	s_and_b32 vcc_lo, exec_lo, s0
	v_add3_u32 v2, v6, v2, v4
	s_cbranch_vccnz .LBB0_9
; %bb.7:                                ;   in Loop: Header=BB0_2 Depth=1
	v_mov_b32_e32 v5, v7
	v_mov_b32_e32 v6, v8
	s_branch .LBB0_2
.LBB0_8:
	v_mov_b32_e32 v8, v6
	v_mov_b32_e32 v7, v5
.LBB0_9:
	s_lshl_b64 s[0:1], s[10:11], 3
	v_mul_hi_u32 v3, 0x25ed098, v0
	s_add_u32 s0, s12, s0
	s_addc_u32 s1, s13, s1
	v_mov_b32_e32 v26, 0
	s_load_dwordx2 s[0:1], s[0:1], 0x0
	s_load_dwordx2 s[4:5], s[4:5], 0x20
                                        ; implicit-def: $vgpr6
                                        ; implicit-def: $vgpr50
                                        ; implicit-def: $vgpr36
                                        ; implicit-def: $vgpr19
                                        ; implicit-def: $vgpr44
                                        ; implicit-def: $vgpr34
                                        ; implicit-def: $vgpr21
                                        ; implicit-def: $vgpr28
                                        ; implicit-def: $vgpr48
                                        ; implicit-def: $vgpr23
                                        ; implicit-def: $vgpr38
                                        ; implicit-def: $vgpr40
                                        ; implicit-def: $vgpr30
                                        ; implicit-def: $vgpr32
                                        ; implicit-def: $vgpr42
                                        ; implicit-def: $vgpr46
	v_mul_u32_u24_e32 v3, 0x6c, v3
	v_sub_nc_u32_e32 v0, v0, v3
	s_waitcnt lgkmcnt(0)
	v_mul_lo_u32 v4, s0, v8
	v_mul_lo_u32 v5, s1, v7
	v_mad_u64_u32 v[1:2], null, s0, v7, v[1:2]
	v_cmp_gt_u64_e32 vcc_lo, s[4:5], v[7:8]
	v_add3_u32 v2, v5, v2, v4
                                        ; implicit-def: $vgpr4
	v_lshlrev_b64 v[24:25], 3, v[1:2]
                                        ; implicit-def: $vgpr2
	s_and_saveexec_b32 s1, vcc_lo
	s_cbranch_execz .LBB0_13
; %bb.10:
	v_mov_b32_e32 v1, 0
	v_add_co_u32 v6, s0, s2, v24
	v_add_co_ci_u32_e64 v11, s0, s3, v25, s0
	v_lshlrev_b64 v[2:3], 3, v[0:1]
	v_mov_b32_e32 v5, v1
	v_or_b32_e32 v4, 0x480, v0
	s_mov_b32 s4, exec_lo
                                        ; implicit-def: $vgpr45
                                        ; implicit-def: $vgpr41
	v_add_co_u32 v1, s0, v6, v2
	v_add_co_ci_u32_e64 v2, s0, v11, v3, s0
	v_lshlrev_b64 v[3:4], 3, v[4:5]
	v_add_co_u32 v7, s0, 0x1000, v1
	v_add_co_ci_u32_e64 v8, s0, 0, v2, s0
	v_add_co_u32 v9, s0, 0x2000, v1
	v_add_co_ci_u32_e64 v10, s0, 0, v2, s0
	;; [unrolled: 2-line block ×4, first 2 shown]
	s_clause 0x7
	global_load_dwordx2 v[5:6], v[1:2], off
	global_load_dwordx2 v[18:19], v[1:2], off offset:864
	global_load_dwordx2 v[33:34], v[9:10], off offset:1888
	;; [unrolled: 1-line block ×3, first 2 shown]
	global_load_dwordx2 v[35:36], v[3:4], off
	global_load_dwordx2 v[43:44], v[7:8], off offset:1376
	global_load_dwordx2 v[49:50], v[7:8], off offset:512
	global_load_dwordx2 v[20:21], v[1:2], off offset:1728
	v_add_co_u32 v3, s0, 0x2800, v1
	v_add_co_ci_u32_e64 v4, s0, 0, v2, s0
	v_add_co_u32 v15, s0, 0x800, v1
	v_add_co_ci_u32_e64 v16, s0, 0, v2, s0
	;; [unrolled: 2-line block ×3, first 2 shown]
	s_clause 0x6
	global_load_dwordx2 v[37:38], v[13:14], off offset:1056
	global_load_dwordx2 v[39:40], v[3:4], off offset:1568
	;; [unrolled: 1-line block ×7, first 2 shown]
                                        ; implicit-def: $vgpr1
	v_cmpx_gt_u32_e32 36, v0
; %bb.11:
	s_clause 0x2
	global_load_dwordx2 v[1:2], v[7:8], off offset:224
	global_load_dwordx2 v[45:46], v[9:10], off offset:736
	;; [unrolled: 1-line block ×3, first 2 shown]
; %bb.12:
	s_or_b32 exec_lo, exec_lo, s4
	v_mov_b32_e32 v26, v0
.LBB0_13:
	s_or_b32 exec_lo, exec_lo, s1
	s_waitcnt vmcnt(8)
	v_add_f32_e32 v7, v49, v35
	v_add_f32_e32 v10, v43, v33
	;; [unrolled: 1-line block ×3, first 2 shown]
	v_sub_f32_e32 v9, v50, v36
	v_add_f32_e32 v11, v18, v43
	v_fmac_f32_e32 v5, -0.5, v7
	v_sub_f32_e32 v7, v44, v34
	s_waitcnt vmcnt(4)
	v_add_f32_e32 v12, v27, v47
	v_fmac_f32_e32 v18, -0.5, v10
	v_add_f32_e32 v13, v20, v27
	v_add_f32_e32 v14, v37, v39
	v_fmamk_f32 v10, v9, 0xbf5db3d7, v5
	v_fmac_f32_e32 v5, 0x3f5db3d7, v9
	v_add_f32_e32 v9, v11, v33
	v_fmamk_f32 v11, v7, 0xbf5db3d7, v18
	v_fmac_f32_e32 v20, -0.5, v12
	v_sub_f32_e32 v12, v28, v48
	v_fmac_f32_e32 v18, 0x3f5db3d7, v7
	v_add_f32_e32 v7, v13, v47
	s_waitcnt vmcnt(2)
	v_add_f32_e32 v13, v22, v37
	v_fmac_f32_e32 v22, -0.5, v14
	v_sub_f32_e32 v14, v38, v40
	v_fmamk_f32 v15, v12, 0xbf5db3d7, v20
	v_fmac_f32_e32 v20, 0x3f5db3d7, v12
	v_add_f32_e32 v12, v13, v39
	s_waitcnt vmcnt(1)
	v_add_f32_e32 v13, v3, v29
	s_waitcnt vmcnt(0)
	v_add_f32_e32 v16, v29, v31
	v_fmamk_f32 v17, v14, 0xbf5db3d7, v22
	v_fmac_f32_e32 v22, 0x3f5db3d7, v14
	v_add_f32_e32 v14, v41, v45
	v_mad_u32_u24 v56, v0, 12, 0
	v_add_f32_e32 v8, v8, v35
	v_add_f32_e32 v52, v13, v31
	v_fmac_f32_e32 v3, -0.5, v16
	v_sub_f32_e32 v13, v30, v32
	v_add_f32_e32 v16, v45, v1
	v_fmac_f32_e32 v1, -0.5, v14
	v_sub_f32_e32 v14, v46, v42
	v_add_nc_u32_e32 v57, 0x510, v56
	v_add_nc_u32_e32 v58, 0xa20, v56
	v_fmamk_f32 v55, v13, 0xbf5db3d7, v3
	v_fmac_f32_e32 v3, 0x3f5db3d7, v13
	v_add_f32_e32 v54, v41, v16
	v_fmamk_f32 v53, v14, 0xbf5db3d7, v1
	v_fmac_f32_e32 v1, 0x3f5db3d7, v14
	ds_write2_b32 v56, v8, v10 offset1:1
	ds_write_b32 v56, v5 offset:8
	ds_write2_b32 v57, v9, v11 offset1:1
	ds_write_b32 v56, v18 offset:1304
	ds_write2_b32 v58, v7, v15 offset1:1
	v_add_nc_u32_e32 v59, 0xf30, v56
	ds_write_b32 v56, v20 offset:2600
	v_add_nc_u32_e32 v20, 0x1440, v56
	v_cmp_gt_u32_e64 s1, 36, v0
	v_add_nc_u32_e32 v5, 0x1950, v56
	ds_write2_b32 v59, v12, v17 offset1:1
	ds_write_b32 v56, v22 offset:3896
	ds_write2_b32 v20, v52, v55 offset1:1
	ds_write_b32 v56, v3 offset:5192
	s_and_saveexec_b32 s0, s1
	s_cbranch_execz .LBB0_15
; %bb.14:
	ds_write2_b32 v5, v54, v53 offset1:1
	ds_write_b32 v56, v1 offset:6488
.LBB0_15:
	s_or_b32 exec_lo, exec_lo, s0
	v_lshlrev_b32_e32 v7, 3, v0
	s_waitcnt lgkmcnt(0)
	s_barrier
	buffer_gl0_inv
	v_cmp_gt_u32_e64 s0, 0x48, v0
	v_sub_nc_u32_e32 v51, v56, v7
	v_add_nc_u32_e32 v9, 0x400, v51
	v_add_nc_u32_e32 v10, 0x800, v51
	;; [unrolled: 1-line block ×5, first 2 shown]
	ds_read2_b32 v[7:8], v51 offset1:108
	ds_read2_b32 v[17:18], v9 offset0:32 offset1:140
	ds_read2_b32 v[15:16], v10 offset0:64 offset1:172
	ds_read2_b32 v[13:14], v11 offset0:96 offset1:204
	ds_read2_b32 v[11:12], v12 offset0:128 offset1:236
	ds_read2_b32 v[9:10], v22 offset0:32 offset1:140
	s_and_saveexec_b32 s4, s0
	s_cbranch_execz .LBB0_17
; %bb.16:
	ds_read_b32 v52, v51 offset:864
	ds_read_b32 v55, v51 offset:2016
	ds_read_b32 v3, v51 offset:3168
	ds_read_b32 v54, v51 offset:4320
	ds_read_b32 v53, v51 offset:5472
	ds_read_b32 v1, v51 offset:6624
.LBB0_17:
	s_or_b32 exec_lo, exec_lo, s4
	v_add_f32_e32 v22, v50, v36
	v_sub_f32_e32 v35, v49, v35
	v_add_f32_e32 v49, v44, v34
	v_add_f32_e32 v50, v6, v50
	v_sub_f32_e32 v33, v43, v33
	v_fmac_f32_e32 v6, -0.5, v22
	v_add_f32_e32 v22, v19, v44
	v_fmac_f32_e32 v19, -0.5, v49
	v_sub_f32_e32 v27, v27, v47
	v_sub_f32_e32 v29, v29, v31
	v_fmamk_f32 v43, v35, 0x3f5db3d7, v6
	v_fmac_f32_e32 v6, 0xbf5db3d7, v35
	v_add_f32_e32 v22, v22, v34
	v_add_f32_e32 v34, v28, v48
	v_fmamk_f32 v35, v33, 0x3f5db3d7, v19
	v_fmac_f32_e32 v19, 0xbf5db3d7, v33
	v_add_f32_e32 v33, v38, v40
	v_add_f32_e32 v28, v21, v28
	v_fmac_f32_e32 v21, -0.5, v34
	v_add_f32_e32 v34, v23, v38
	v_add_f32_e32 v31, v46, v2
	v_fmac_f32_e32 v23, -0.5, v33
	v_sub_f32_e32 v33, v37, v39
	v_fmamk_f32 v37, v27, 0x3f5db3d7, v21
	v_fmac_f32_e32 v21, 0xbf5db3d7, v27
	v_add_f32_e32 v27, v34, v40
	v_add_f32_e32 v34, v30, v32
	v_fmamk_f32 v44, v33, 0x3f5db3d7, v23
	v_fmac_f32_e32 v23, 0xbf5db3d7, v33
	v_add_f32_e32 v33, v42, v46
	v_add_f32_e32 v30, v4, v30
	v_fmac_f32_e32 v4, -0.5, v34
	v_sub_f32_e32 v34, v45, v41
	v_add_f32_e32 v36, v50, v36
	v_fmac_f32_e32 v2, -0.5, v33
	v_add_f32_e32 v33, v30, v32
	v_fmamk_f32 v40, v29, 0x3f5db3d7, v4
	v_fmac_f32_e32 v4, 0xbf5db3d7, v29
	v_add_f32_e32 v39, v42, v31
	v_fmamk_f32 v38, v34, 0x3f5db3d7, v2
	v_fmac_f32_e32 v2, 0xbf5db3d7, v34
	v_add_f32_e32 v28, v28, v48
	s_waitcnt lgkmcnt(0)
	s_barrier
	buffer_gl0_inv
	ds_write2_b32 v56, v36, v43 offset1:1
	ds_write_b32 v56, v6 offset:8
	ds_write2_b32 v57, v22, v35 offset1:1
	ds_write_b32 v56, v19 offset:1304
	;; [unrolled: 2-line block ×5, first 2 shown]
	s_and_saveexec_b32 s4, s1
	s_cbranch_execz .LBB0_19
; %bb.18:
	ds_write2_b32 v5, v39, v38 offset1:1
	ds_write_b32 v56, v2 offset:6488
.LBB0_19:
	s_or_b32 exec_lo, exec_lo, s4
	v_add_nc_u32_e32 v19, 0x400, v51
	v_add_nc_u32_e32 v20, 0x800, v51
	v_add_nc_u32_e32 v21, 0xc00, v51
	v_add_nc_u32_e32 v22, 0x1000, v51
	v_add_nc_u32_e32 v23, 0x1600, v51
	s_waitcnt lgkmcnt(0)
	s_barrier
	buffer_gl0_inv
	ds_read2_b32 v[5:6], v51 offset1:108
	ds_read2_b32 v[31:32], v19 offset0:32 offset1:140
	ds_read2_b32 v[29:30], v20 offset0:64 offset1:172
	;; [unrolled: 1-line block ×5, first 2 shown]
	s_and_saveexec_b32 s1, s0
	s_cbranch_execz .LBB0_21
; %bb.20:
	ds_read_b32 v33, v51 offset:864
	ds_read_b32 v40, v51 offset:2016
	;; [unrolled: 1-line block ×6, first 2 shown]
.LBB0_21:
	s_or_b32 exec_lo, exec_lo, s1
	v_add_nc_u32_e32 v23, 0xd8, v0
	v_mov_b32_e32 v34, 0xaaab
	v_and_b32_e32 v36, 0xff, v0
	v_mov_b32_e32 v41, 5
	v_mul_u32_u24_sdwa v34, v23, v34 dst_sel:DWORD dst_unused:UNUSED_PAD src0_sel:WORD_0 src1_sel:DWORD
	v_lshrrev_b32_e32 v44, 17, v34
	v_mul_lo_u16 v34, v44, 3
	v_sub_nc_u16 v37, v23, v34
	v_mul_lo_u16 v34, 0xab, v36
	v_mul_u32_u24_sdwa v35, v37, v41 dst_sel:DWORD dst_unused:UNUSED_PAD src0_sel:WORD_0 src1_sel:DWORD
	v_lshrrev_b16 v42, 9, v34
	v_add_nc_u16 v34, v0, 0x6c
	v_lshlrev_b32_e32 v43, 3, v35
	v_mul_lo_u16 v35, v42, 3
	s_clause 0x1
	global_load_dwordx4 v[56:59], v43, s[8:9]
	global_load_dwordx4 v[60:63], v43, s[8:9] offset:16
	v_sub_nc_u16 v46, v0, v35
	v_and_b32_e32 v35, 0xff, v34
	global_load_dwordx2 v[80:81], v43, s[8:9] offset:32
	v_mul_u32_u24_sdwa v45, v46, v41 dst_sel:DWORD dst_unused:UNUSED_PAD src0_sel:BYTE_0 src1_sel:DWORD
	v_mul_lo_u16 v47, 0xab, v35
	v_lshlrev_b32_e32 v45, 3, v45
	v_lshrrev_b16 v47, 9, v47
	global_load_dwordx4 v[64:67], v45, s[8:9]
	v_mul_lo_u16 v48, v47, 3
	global_load_dwordx4 v[68:71], v45, s[8:9] offset:16
	v_sub_nc_u16 v48, v34, v48
	v_mul_u32_u24_sdwa v41, v48, v41 dst_sel:DWORD dst_unused:UNUSED_PAD src0_sel:BYTE_0 src1_sel:DWORD
	v_lshlrev_b32_e32 v41, 3, v41
	s_clause 0x3
	global_load_dwordx4 v[72:75], v41, s[8:9]
	global_load_dwordx2 v[82:83], v45, s[8:9] offset:32
	global_load_dwordx4 v[76:79], v41, s[8:9] offset:16
	global_load_dwordx2 v[84:85], v41, s[8:9] offset:32
	v_mov_b32_e32 v41, 0x48
	v_mov_b32_e32 v45, 2
	s_waitcnt vmcnt(0) lgkmcnt(0)
	s_barrier
	buffer_gl0_inv
	v_mul_u32_u24_sdwa v42, v42, v41 dst_sel:DWORD dst_unused:UNUSED_PAD src0_sel:WORD_0 src1_sel:DWORD
	v_mul_u32_u24_sdwa v41, v47, v41 dst_sel:DWORD dst_unused:UNUSED_PAD src0_sel:WORD_0 src1_sel:DWORD
	v_lshlrev_b32_sdwa v43, v45, v46 dst_sel:DWORD dst_unused:UNUSED_PAD src0_sel:DWORD src1_sel:BYTE_0
	v_lshlrev_b32_sdwa v46, v45, v48 dst_sel:DWORD dst_unused:UNUSED_PAD src0_sel:DWORD src1_sel:BYTE_0
	v_mul_lo_u16 v48, v44, 18
	v_add3_u32 v42, 0, v42, v43
	v_add3_u32 v41, 0, v41, v46
	v_mul_f32_e32 v46, v3, v59
	v_mul_f32_e32 v43, v4, v59
	;; [unrolled: 1-line block ×4, first 2 shown]
	v_fma_f32 v44, v4, v58, -v46
	v_mul_f32_e32 v4, v55, v57
	v_fmac_f32_e32 v43, v3, v58
	v_mul_f32_e32 v3, v40, v57
	v_mul_f32_e32 v46, v39, v61
	v_fma_f32 v47, v39, v60, -v47
	v_fma_f32 v4, v40, v56, -v4
	v_mul_f32_e32 v40, v38, v63
	v_fma_f32 v49, v38, v62, -v49
	v_mul_f32_e32 v63, v1, v81
	v_fmac_f32_e32 v3, v55, v56
	v_fmac_f32_e32 v46, v54, v60
	v_mul_f32_e32 v50, v31, v65
	v_mul_f32_e32 v39, v15, v67
	;; [unrolled: 1-line block ×5, first 2 shown]
	v_fmac_f32_e32 v40, v53, v62
	v_mul_f32_e32 v57, v27, v69
	v_mul_f32_e32 v58, v21, v71
	;; [unrolled: 1-line block ×4, first 2 shown]
	v_fmac_f32_e32 v50, v17, v64
	v_fma_f32 v17, v2, v80, -v63
	v_fma_f32 v62, v29, v66, -v39
	;; [unrolled: 1-line block ×4, first 2 shown]
	v_fmac_f32_e32 v54, v15, v66
	v_fmac_f32_e32 v57, v13, v68
	;; [unrolled: 1-line block ×3, first 2 shown]
	v_mul_f32_e32 v27, v30, v75
	v_mul_f32_e32 v2, v9, v83
	;; [unrolled: 1-line block ×4, first 2 shown]
	v_fma_f32 v56, v21, v70, -v53
	v_mul_f32_e32 v21, v32, v73
	v_mul_f32_e32 v11, v18, v73
	;; [unrolled: 1-line block ×3, first 2 shown]
	v_fmac_f32_e32 v61, v1, v80
	v_mul_f32_e32 v1, v19, v83
	v_mul_f32_e32 v15, v28, v77
	;; [unrolled: 1-line block ×3, first 2 shown]
	v_fma_f32 v63, v19, v82, -v2
	v_mul_f32_e32 v53, v22, v79
	v_mul_f32_e32 v38, v20, v85
	v_fmac_f32_e32 v27, v16, v74
	v_fma_f32 v28, v28, v76, -v29
	v_fma_f32 v19, v20, v84, -v39
	v_add_f32_e32 v16, v3, v46
	v_fmac_f32_e32 v21, v18, v72
	v_fma_f32 v18, v32, v72, -v11
	v_fma_f32 v55, v30, v74, -v13
	v_fmac_f32_e32 v1, v9, v82
	v_fmac_f32_e32 v15, v14, v76
	v_fma_f32 v22, v22, v78, -v31
	v_add_f32_e32 v2, v7, v54
	v_add_f32_e32 v9, v54, v58
	;; [unrolled: 1-line block ×5, first 2 shown]
	v_sub_f32_e32 v31, v46, v61
	v_add_f32_e32 v46, v60, v63
	v_fmac_f32_e32 v53, v12, v78
	v_fmac_f32_e32 v38, v10, v84
	v_add_f32_e32 v13, v43, v40
	v_add_f32_e32 v16, v16, v61
	;; [unrolled: 1-line block ×3, first 2 shown]
	v_sub_f32_e32 v10, v62, v56
	v_add_f32_e32 v12, v52, v43
	v_add_f32_e32 v32, v57, v1
	v_sub_f32_e32 v65, v57, v1
	v_add_f32_e32 v2, v2, v58
	v_fma_f32 v7, -0.5, v9, v7
	v_add_f32_e32 v1, v11, v1
	v_add_f32_e32 v9, v8, v27
	;; [unrolled: 1-line block ×3, first 2 shown]
	v_fmac_f32_e32 v3, -0.5, v20
	v_fma_f32 v20, -0.5, v30, v4
	v_fma_f32 v67, -0.5, v46, v59
	v_add_f32_e32 v11, v27, v53
	v_fmac_f32_e32 v52, -0.5, v13
	v_add_f32_e32 v13, v15, v38
	v_sub_f32_e32 v15, v15, v38
	v_fma_f32 v64, -0.5, v61, v18
	v_sub_f32_e32 v14, v44, v49
	v_sub_f32_e32 v29, v47, v17
	;; [unrolled: 1-line block ×3, first 2 shown]
	v_add_f32_e32 v12, v12, v40
	v_fmac_f32_e32 v50, -0.5, v32
	v_fmamk_f32 v46, v10, 0xbf5db3d7, v7
	v_fmac_f32_e32 v7, 0x3f5db3d7, v10
	v_add_f32_e32 v10, v2, v1
	v_sub_f32_e32 v1, v2, v1
	v_add_f32_e32 v2, v9, v53
	v_add_f32_e32 v9, v57, v38
	v_fmamk_f32 v61, v31, 0x3f5db3d7, v20
	v_fmac_f32_e32 v20, 0xbf5db3d7, v31
	v_fmamk_f32 v69, v65, 0x3f5db3d7, v67
	v_sub_f32_e32 v70, v55, v22
	v_sub_f32_e32 v71, v28, v19
	v_fmac_f32_e32 v8, -0.5, v11
	v_fmac_f32_e32 v21, -0.5, v13
	v_fmac_f32_e32 v67, 0xbf5db3d7, v65
	v_fmamk_f32 v66, v15, 0x3f5db3d7, v64
	v_fmac_f32_e32 v64, 0xbf5db3d7, v15
	v_fmamk_f32 v11, v14, 0xbf5db3d7, v52
	;; [unrolled: 2-line block ×3, first 2 shown]
	v_fmac_f32_e32 v3, 0x3f5db3d7, v29
	v_add_f32_e32 v29, v12, v16
	v_sub_f32_e32 v30, v12, v16
	v_fmamk_f32 v68, v39, 0xbf5db3d7, v50
	v_add_f32_e32 v13, v2, v9
	v_sub_f32_e32 v2, v2, v9
	v_mul_f32_e32 v9, 0xbf5db3d7, v61
	v_mul_f32_e32 v14, 0xbf5db3d7, v20
	;; [unrolled: 1-line block ×3, first 2 shown]
	v_fmac_f32_e32 v50, 0x3f5db3d7, v39
	v_fmamk_f32 v65, v71, 0xbf5db3d7, v21
	v_fmac_f32_e32 v21, 0x3f5db3d7, v71
	v_fmamk_f32 v12, v70, 0xbf5db3d7, v8
	v_fmac_f32_e32 v8, 0x3f5db3d7, v70
	v_mul_f32_e32 v15, 0xbf5db3d7, v64
	v_mul_f32_e32 v70, 0xbf5db3d7, v67
	v_mul_f32_e32 v71, 0xbf5db3d7, v66
	v_fmac_f32_e32 v9, 0.5, v57
	v_fmac_f32_e32 v14, -0.5, v3
	v_fmac_f32_e32 v16, 0.5, v68
	v_fmac_f32_e32 v15, -0.5, v21
	v_fmac_f32_e32 v70, -0.5, v50
	v_fmac_f32_e32 v71, 0.5, v65
	v_add_f32_e32 v32, v11, v9
	v_sub_f32_e32 v31, v11, v9
	v_add_f32_e32 v39, v52, v14
	v_sub_f32_e32 v38, v52, v14
	v_add_f32_e32 v11, v46, v16
	v_add_f32_e32 v9, v8, v15
	v_sub_f32_e32 v8, v8, v15
	v_add_f32_e32 v15, v7, v70
	v_sub_f32_e32 v14, v46, v16
	v_sub_f32_e32 v7, v7, v70
	v_add_f32_e32 v16, v12, v71
	v_sub_f32_e32 v12, v12, v71
	ds_write2_b32 v42, v10, v11 offset1:3
	ds_write2_b32 v42, v15, v1 offset0:6 offset1:9
	ds_write2_b32 v42, v14, v7 offset0:12 offset1:15
	ds_write2_b32 v41, v13, v16 offset1:3
	ds_write2_b32 v41, v9, v2 offset0:6 offset1:9
	ds_write2_b32 v41, v12, v8 offset0:12 offset1:15
	s_and_saveexec_b32 s1, s0
	s_cbranch_execz .LBB0_23
; %bb.22:
	v_lshlrev_b32_sdwa v1, v45, v37 dst_sel:DWORD dst_unused:UNUSED_PAD src0_sel:DWORD src1_sel:WORD_0
	v_lshlrev_b32_sdwa v2, v45, v48 dst_sel:DWORD dst_unused:UNUSED_PAD src0_sel:DWORD src1_sel:WORD_0
	v_add3_u32 v1, 0, v1, v2
	ds_write2_b32 v1, v29, v32 offset1:3
	ds_write2_b32 v1, v39, v30 offset0:6 offset1:9
	ds_write2_b32 v1, v31, v38 offset0:12 offset1:15
.LBB0_23:
	s_or_b32 exec_lo, exec_lo, s1
	v_add_nc_u32_e32 v7, 0x400, v51
	v_add_nc_u32_e32 v8, 0x800, v51
	;; [unrolled: 1-line block ×5, first 2 shown]
	s_waitcnt lgkmcnt(0)
	s_barrier
	buffer_gl0_inv
	ds_read2_b32 v[1:2], v51 offset1:108
	ds_read2_b32 v[15:16], v7 offset0:32 offset1:140
	ds_read2_b32 v[13:14], v8 offset0:64 offset1:172
	;; [unrolled: 1-line block ×5, first 2 shown]
	v_lshl_add_u32 v46, v0, 2, 0
	s_and_saveexec_b32 s1, s0
	s_cbranch_execz .LBB0_25
; %bb.24:
	ds_read_b32 v32, v51 offset:2016
	ds_read_b32 v39, v51 offset:3168
	;; [unrolled: 1-line block ×6, first 2 shown]
.LBB0_25:
	s_or_b32 exec_lo, exec_lo, s1
	v_add_f32_e32 v45, v62, v56
	v_add_f32_e32 v52, v5, v62
	v_sub_f32_e32 v54, v54, v58
	v_add_f32_e32 v58, v59, v60
	v_add_f32_e32 v62, v55, v22
	v_fma_f32 v5, -0.5, v45, v5
	v_mul_f32_e32 v45, -0.5, v67
	v_add_f32_e32 v52, v52, v56
	v_add_f32_e32 v56, v58, v63
	;; [unrolled: 1-line block ×3, first 2 shown]
	v_fmamk_f32 v58, v54, 0x3f5db3d7, v5
	v_fmac_f32_e32 v45, 0x3f5db3d7, v50
	v_fmac_f32_e32 v5, 0xbf5db3d7, v54
	v_sub_f32_e32 v27, v27, v53
	v_mul_f32_e32 v59, 0.5, v69
	v_add_f32_e32 v18, v18, v19
	v_add_f32_e32 v4, v4, v47
	;; [unrolled: 1-line block ×3, first 2 shown]
	v_sub_f32_e32 v5, v5, v45
	v_add_f32_e32 v45, v6, v55
	v_fmac_f32_e32 v6, -0.5, v62
	v_fmac_f32_e32 v59, 0x3f5db3d7, v68
	v_mul_f32_e32 v20, -0.5, v20
	v_mul_f32_e32 v28, 0.5, v66
	v_add_f32_e32 v22, v45, v22
	v_mul_f32_e32 v45, -0.5, v64
	v_fmamk_f32 v19, v27, 0x3f5db3d7, v6
	v_fmac_f32_e32 v6, 0xbf5db3d7, v27
	v_add_f32_e32 v27, v44, v49
	v_add_f32_e32 v44, v33, v44
	v_fmac_f32_e32 v45, 0x3f5db3d7, v21
	v_add_f32_e32 v21, v22, v18
	v_sub_f32_e32 v18, v22, v18
	v_fmac_f32_e32 v33, -0.5, v27
	v_sub_f32_e32 v22, v43, v40
	v_add_f32_e32 v27, v44, v49
	v_mul_f32_e32 v49, 0.5, v61
	v_add_f32_e32 v50, v52, v56
	v_add_f32_e32 v54, v58, v59
	v_sub_f32_e32 v52, v52, v56
	v_sub_f32_e32 v56, v58, v59
	v_fmamk_f32 v58, v22, 0x3f5db3d7, v33
	v_fmac_f32_e32 v33, 0xbf5db3d7, v22
	v_add_f32_e32 v4, v4, v17
	v_fmac_f32_e32 v49, 0x3f5db3d7, v57
	v_fmac_f32_e32 v20, 0x3f5db3d7, v3
	v_fmac_f32_e32 v28, 0x3f5db3d7, v65
	v_add_f32_e32 v55, v6, v45
	v_sub_f32_e32 v6, v6, v45
	v_add_f32_e32 v44, v27, v4
	v_add_f32_e32 v40, v58, v49
	;; [unrolled: 1-line block ×3, first 2 shown]
	v_sub_f32_e32 v47, v27, v4
	v_sub_f32_e32 v45, v58, v49
	v_sub_f32_e32 v33, v33, v20
	v_add_f32_e32 v53, v19, v28
	v_sub_f32_e32 v3, v19, v28
	s_waitcnt lgkmcnt(0)
	s_barrier
	buffer_gl0_inv
	ds_write2_b32 v42, v50, v54 offset1:3
	ds_write2_b32 v42, v60, v52 offset0:6 offset1:9
	ds_write2_b32 v42, v56, v5 offset0:12 offset1:15
	ds_write2_b32 v41, v21, v53 offset1:3
	ds_write2_b32 v41, v55, v18 offset0:6 offset1:9
	ds_write2_b32 v41, v3, v6 offset0:12 offset1:15
	s_and_saveexec_b32 s1, s0
	s_cbranch_execz .LBB0_27
; %bb.26:
	v_mov_b32_e32 v3, 2
	v_lshlrev_b32_sdwa v4, v3, v37 dst_sel:DWORD dst_unused:UNUSED_PAD src0_sel:DWORD src1_sel:WORD_0
	v_lshlrev_b32_sdwa v3, v3, v48 dst_sel:DWORD dst_unused:UNUSED_PAD src0_sel:DWORD src1_sel:WORD_0
	v_add3_u32 v3, 0, v4, v3
	ds_write2_b32 v3, v44, v40 offset1:3
	ds_write2_b32 v3, v43, v47 offset0:6 offset1:9
	ds_write2_b32 v3, v45, v33 offset0:12 offset1:15
.LBB0_27:
	s_or_b32 exec_lo, exec_lo, s1
	v_add_nc_u32_e32 v5, 0x400, v51
	v_add_nc_u32_e32 v6, 0x800, v51
	;; [unrolled: 1-line block ×5, first 2 shown]
	s_waitcnt lgkmcnt(0)
	s_barrier
	buffer_gl0_inv
	ds_read2_b32 v[3:4], v51 offset1:108
	ds_read2_b32 v[27:28], v5 offset0:32 offset1:140
	ds_read2_b32 v[21:22], v6 offset0:64 offset1:172
	;; [unrolled: 1-line block ×5, first 2 shown]
	s_and_saveexec_b32 s1, s0
	s_cbranch_execz .LBB0_29
; %bb.28:
	ds_read_b32 v40, v51 offset:2016
	ds_read_b32 v43, v51 offset:3168
	ds_read_b32 v47, v51 offset:4320
	ds_read_b32 v45, v51 offset:5472
	ds_read_b32 v44, v46 offset:864
	ds_read_b32 v33, v51 offset:6624
.LBB0_29:
	s_or_b32 exec_lo, exec_lo, s1
	v_mul_lo_u16 v36, v36, 57
	v_mul_lo_u16 v35, v35, 57
	v_mov_b32_e32 v41, 5
	v_mov_b32_e32 v49, 0xe38f
	v_lshrrev_b16 v36, 10, v36
	v_lshrrev_b16 v35, 10, v35
	v_mul_u32_u24_sdwa v49, v23, v49 dst_sel:DWORD dst_unused:UNUSED_PAD src0_sel:WORD_0 src1_sel:DWORD
	v_mul_lo_u16 v37, v36, 18
	v_mul_lo_u16 v42, v35, 18
	v_sub_nc_u16 v37, v0, v37
	v_sub_nc_u16 v34, v34, v42
	v_mul_u32_u24_sdwa v42, v37, v41 dst_sel:DWORD dst_unused:UNUSED_PAD src0_sel:BYTE_0 src1_sel:DWORD
	v_mul_u32_u24_sdwa v48, v34, v41 dst_sel:DWORD dst_unused:UNUSED_PAD src0_sel:BYTE_0 src1_sel:DWORD
	v_lshlrev_b32_e32 v42, 3, v42
	v_lshlrev_b32_e32 v48, 3, v48
	s_clause 0x4
	global_load_dwordx4 v[53:56], v42, s[8:9] offset:120
	global_load_dwordx4 v[57:60], v48, s[8:9] offset:120
	;; [unrolled: 1-line block ×3, first 2 shown]
	global_load_dwordx2 v[77:78], v42, s[8:9] offset:152
	global_load_dwordx4 v[65:68], v48, s[8:9] offset:136
	v_lshrrev_b32_e32 v42, 20, v49
	global_load_dwordx2 v[79:80], v48, s[8:9] offset:152
	v_mul_lo_u16 v48, v42, 18
	v_sub_nc_u16 v23, v23, v48
	v_mov_b32_e32 v48, 0x1b0
	v_mul_u32_u24_sdwa v41, v23, v41 dst_sel:DWORD dst_unused:UNUSED_PAD src0_sel:WORD_0 src1_sel:DWORD
	v_mul_u32_u24_sdwa v36, v36, v48 dst_sel:DWORD dst_unused:UNUSED_PAD src0_sel:WORD_0 src1_sel:DWORD
	;; [unrolled: 1-line block ×3, first 2 shown]
	v_mul_lo_u16 v48, 0x6c, v42
	v_lshlrev_b32_e32 v41, 3, v41
	s_clause 0x2
	global_load_dwordx4 v[69:72], v41, s[8:9] offset:120
	global_load_dwordx4 v[73:76], v41, s[8:9] offset:136
	global_load_dwordx2 v[81:82], v41, s[8:9] offset:152
	v_mov_b32_e32 v41, 2
	s_waitcnt vmcnt(0) lgkmcnt(0)
	s_barrier
	buffer_gl0_inv
	v_lshlrev_b32_sdwa v37, v41, v37 dst_sel:DWORD dst_unused:UNUSED_PAD src0_sel:DWORD src1_sel:BYTE_0
	v_lshlrev_b32_sdwa v34, v41, v34 dst_sel:DWORD dst_unused:UNUSED_PAD src0_sel:DWORD src1_sel:BYTE_0
	v_add3_u32 v50, 0, v36, v37
	v_add3_u32 v49, 0, v35, v34
	v_mul_f32_e32 v35, v27, v54
	v_mul_f32_e32 v54, v15, v54
	;; [unrolled: 1-line block ×19, first 2 shown]
	v_fmac_f32_e32 v35, v15, v53
	v_fma_f32 v27, v27, v53, -v54
	v_fma_f32 v53, v21, v55, -v56
	v_fma_f32 v15, v28, v57, -v58
	v_fma_f32 v21, v22, v59, -v60
	v_fma_f32 v28, v19, v61, -v62
	v_fma_f32 v22, v5, v77, -v78
	v_fmac_f32_e32 v52, v16, v57
	v_mul_f32_e32 v54, v40, v70
	v_fmac_f32_e32 v83, v11, v61
	v_fma_f32 v19, v17, v63, -v64
	v_fmac_f32_e32 v84, v7, v77
	v_fma_f32 v17, v20, v65, -v66
	v_fma_f32 v16, v6, v79, -v80
	v_mul_f32_e32 v56, v47, v74
	v_fmac_f32_e32 v37, v13, v55
	v_fmac_f32_e32 v34, v14, v59
	;; [unrolled: 1-line block ×6, first 2 shown]
	v_mul_f32_e32 v5, v32, v70
	v_mul_f32_e32 v7, v43, v72
	;; [unrolled: 1-line block ×6, first 2 shown]
	v_fmac_f32_e32 v54, v32, v69
	v_add_f32_e32 v32, v28, v22
	v_mul_f32_e32 v68, v10, v68
	v_mul_f32_e32 v10, v30, v74
	;; [unrolled: 1-line block ×3, first 2 shown]
	v_fmac_f32_e32 v56, v30, v73
	v_add_f32_e32 v30, v83, v84
	v_add_f32_e32 v57, v17, v16
	v_fma_f32 v9, v40, v69, -v5
	v_fmac_f32_e32 v7, v39, v71
	v_fma_f32 v11, v43, v71, -v6
	v_fma_f32 v6, v45, v75, -v12
	v_fmac_f32_e32 v55, v38, v81
	v_fma_f32 v5, v33, v81, -v13
	v_add_f32_e32 v12, v1, v37
	v_add_f32_e32 v13, v37, v42
	;; [unrolled: 1-line block ×3, first 2 shown]
	v_sub_f32_e32 v39, v83, v84
	v_add_f32_e32 v38, v34, v36
	v_add_f32_e32 v45, v85, v86
	v_fma_f32 v32, -0.5, v32, v27
	v_fmac_f32_e32 v8, v31, v75
	v_sub_f32_e32 v31, v28, v22
	v_add_f32_e32 v33, v2, v34
	v_sub_f32_e32 v58, v85, v86
	v_fmac_f32_e32 v35, -0.5, v30
	v_fma_f32 v30, -0.5, v57, v15
	v_fma_f32 v18, v18, v67, -v68
	v_fma_f32 v10, v47, v73, -v10
	v_add_f32_e32 v43, v52, v85
	v_add_f32_e32 v12, v12, v42
	v_fma_f32 v59, -0.5, v13, v1
	v_add_f32_e32 v1, v20, v84
	v_fmac_f32_e32 v2, -0.5, v38
	v_fmac_f32_e32 v52, -0.5, v45
	v_add_f32_e32 v45, v56, v55
	v_fmamk_f32 v38, v39, 0x3f5db3d7, v32
	v_sub_f32_e32 v47, v17, v16
	v_fmac_f32_e32 v32, 0xbf5db3d7, v39
	v_add_f32_e32 v13, v33, v36
	v_fmamk_f32 v33, v31, 0xbf5db3d7, v35
	v_fmac_f32_e32 v35, 0x3f5db3d7, v31
	v_fmamk_f32 v31, v58, 0x3f5db3d7, v30
	v_sub_f32_e32 v40, v21, v18
	v_add_f32_e32 v43, v43, v86
	v_add_f32_e32 v60, v10, v5
	v_fmac_f32_e32 v30, 0xbf5db3d7, v58
	v_sub_f32_e32 v14, v53, v19
	v_add_f32_e32 v39, v12, v1
	v_sub_f32_e32 v63, v12, v1
	v_fma_f32 v1, -0.5, v45, v54
	v_mul_f32_e32 v45, 0xbf5db3d7, v38
	v_fmamk_f32 v20, v47, 0xbf5db3d7, v52
	v_fmac_f32_e32 v52, 0x3f5db3d7, v47
	v_mul_f32_e32 v47, 0xbf5db3d7, v32
	v_mul_f32_e32 v58, 0xbf5db3d7, v31
	v_fmamk_f32 v64, v40, 0xbf5db3d7, v2
	v_fmac_f32_e32 v2, 0x3f5db3d7, v40
	v_add_f32_e32 v40, v13, v43
	v_sub_f32_e32 v43, v13, v43
	v_fma_f32 v13, -0.5, v60, v9
	v_mul_f32_e32 v60, 0xbf5db3d7, v30
	v_sub_f32_e32 v57, v10, v5
	v_sub_f32_e32 v61, v56, v55
	v_fmamk_f32 v62, v14, 0xbf5db3d7, v59
	v_fmac_f32_e32 v45, 0.5, v33
	v_fmac_f32_e32 v59, 0x3f5db3d7, v14
	v_fmac_f32_e32 v47, -0.5, v35
	v_fmac_f32_e32 v58, 0.5, v20
	v_fmac_f32_e32 v60, -0.5, v52
	v_fmamk_f32 v12, v57, 0xbf5db3d7, v1
	v_fmac_f32_e32 v1, 0x3f5db3d7, v57
	v_fmamk_f32 v14, v61, 0x3f5db3d7, v13
	v_fmac_f32_e32 v13, 0xbf5db3d7, v61
	v_add_f32_e32 v57, v62, v45
	v_add_f32_e32 v61, v59, v47
	v_sub_f32_e32 v45, v62, v45
	v_sub_f32_e32 v47, v59, v47
	v_add_f32_e32 v59, v64, v58
	v_add_f32_e32 v62, v2, v60
	v_sub_f32_e32 v58, v64, v58
	v_sub_f32_e32 v2, v2, v60
	ds_write2_b32 v50, v39, v57 offset1:18
	ds_write2_b32 v50, v61, v63 offset0:36 offset1:54
	ds_write2_b32 v50, v45, v47 offset0:72 offset1:90
	ds_write2_b32 v49, v40, v59 offset1:18
	ds_write2_b32 v49, v62, v43 offset0:36 offset1:54
	ds_write2_b32 v49, v58, v2 offset0:72 offset1:90
	s_and_saveexec_b32 s1, s0
	s_cbranch_execz .LBB0_31
; %bb.30:
	v_add_f32_e32 v2, v7, v8
	v_sub_f32_e32 v39, v11, v6
	v_mul_f32_e32 v43, 0xbf5db3d7, v14
	v_add_f32_e32 v45, v29, v7
	v_mul_f32_e32 v40, 0xbf5db3d7, v13
	v_fma_f32 v2, -0.5, v2, v29
	v_add_f32_e32 v29, v54, v56
	v_fmac_f32_e32 v43, 0.5, v12
	v_add_f32_e32 v45, v45, v8
	v_fmac_f32_e32 v40, -0.5, v1
	v_fmamk_f32 v47, v39, 0x3f5db3d7, v2
	v_add_f32_e32 v29, v29, v55
	v_fmac_f32_e32 v2, 0xbf5db3d7, v39
	v_lshlrev_b32_sdwa v39, v41, v23 dst_sel:DWORD dst_unused:UNUSED_PAD src0_sel:DWORD src1_sel:WORD_0
	v_lshlrev_b32_sdwa v41, v41, v48 dst_sel:DWORD dst_unused:UNUSED_PAD src0_sel:DWORD src1_sel:WORD_0
	v_sub_f32_e32 v54, v47, v40
	v_sub_f32_e32 v55, v45, v29
	v_add_f32_e32 v56, v2, v43
	v_add_f32_e32 v29, v45, v29
	v_add3_u32 v39, 0, v39, v41
	v_add_f32_e32 v40, v47, v40
	v_sub_f32_e32 v2, v2, v43
	ds_write2_b32 v39, v29, v56 offset1:18
	ds_write2_b32 v39, v40, v55 offset0:36 offset1:54
	ds_write2_b32 v39, v2, v54 offset0:72 offset1:90
.LBB0_31:
	s_or_b32 exec_lo, exec_lo, s1
	v_add_f32_e32 v29, v3, v53
	v_add_f32_e32 v27, v27, v28
	;; [unrolled: 1-line block ×4, first 2 shown]
	v_sub_f32_e32 v37, v37, v42
	v_add_f32_e32 v19, v29, v19
	v_add_f32_e32 v22, v27, v22
	v_fma_f32 v2, -0.5, v2, v3
	v_add_f32_e32 v21, v4, v21
	v_fmac_f32_e32 v4, -0.5, v28
	v_sub_f32_e32 v28, v34, v36
	v_add_f32_e32 v15, v15, v17
	v_add_f32_e32 v47, v19, v22
	v_sub_f32_e32 v17, v19, v22
	v_add_nc_u32_e32 v22, 0x200, v46
	v_mul_f32_e32 v3, -0.5, v32
	v_add_nc_u32_e32 v32, 0x600, v46
	v_mul_f32_e32 v45, 0.5, v38
	v_fmamk_f32 v27, v37, 0x3f5db3d7, v2
	v_fmac_f32_e32 v2, 0xbf5db3d7, v37
	v_add_f32_e32 v18, v21, v18
	v_fmamk_f32 v19, v28, 0x3f5db3d7, v4
	v_fmac_f32_e32 v4, 0xbf5db3d7, v28
	v_add_f32_e32 v15, v15, v16
	v_mul_f32_e32 v16, 0.5, v31
	v_mul_f32_e32 v21, -0.5, v30
	s_waitcnt lgkmcnt(0)
	s_barrier
	buffer_gl0_inv
	ds_read2_b32 v[28:29], v51 offset1:108
	ds_read2_b32 v[30:31], v22 offset0:88 offset1:196
	ds_read2_b32 v[36:37], v32 offset0:48 offset1:156
	v_add_nc_u32_e32 v22, 0x800, v51
	v_add_nc_u32_e32 v32, 0xc00, v51
	;; [unrolled: 1-line block ×5, first 2 shown]
	v_fmac_f32_e32 v45, 0x3f5db3d7, v33
	v_fmac_f32_e32 v3, 0x3f5db3d7, v35
	ds_read2_b32 v[40:41], v22 offset0:136 offset1:244
	ds_read2_b32 v[32:33], v32 offset0:96 offset1:204
	ds_read2_b32 v[34:35], v34 offset0:56 offset1:164
	ds_read2_b32 v[38:39], v38 offset0:16 offset1:124
	ds_read2_b32 v[42:43], v42 offset0:104 offset1:212
	v_fmac_f32_e32 v16, 0x3f5db3d7, v20
	v_fmac_f32_e32 v21, 0x3f5db3d7, v52
	v_add_f32_e32 v53, v27, v45
	v_add_f32_e32 v54, v2, v3
	v_sub_f32_e32 v20, v27, v45
	v_sub_f32_e32 v2, v2, v3
	v_add_f32_e32 v3, v18, v15
	v_add_f32_e32 v22, v19, v16
	;; [unrolled: 1-line block ×3, first 2 shown]
	v_sub_f32_e32 v15, v18, v15
	v_sub_f32_e32 v16, v19, v16
	;; [unrolled: 1-line block ×3, first 2 shown]
	s_waitcnt lgkmcnt(0)
	s_barrier
	buffer_gl0_inv
	ds_write2_b32 v50, v47, v53 offset1:18
	ds_write2_b32 v50, v54, v17 offset0:36 offset1:54
	ds_write2_b32 v50, v20, v2 offset0:72 offset1:90
	ds_write2_b32 v49, v3, v22 offset1:18
	ds_write2_b32 v49, v27, v15 offset0:36 offset1:54
	ds_write2_b32 v49, v16, v4 offset0:72 offset1:90
	s_and_saveexec_b32 s1, s0
	s_cbranch_execz .LBB0_33
; %bb.32:
	v_add_f32_e32 v2, v11, v6
	v_add_f32_e32 v3, v44, v11
	v_sub_f32_e32 v4, v7, v8
	v_add_f32_e32 v7, v9, v10
	v_mul_f32_e32 v8, -0.5, v13
	v_fmac_f32_e32 v44, -0.5, v2
	v_mul_f32_e32 v2, 0.5, v14
	v_mov_b32_e32 v9, 2
	v_add_f32_e32 v3, v3, v6
	v_add_f32_e32 v5, v7, v5
	v_fmamk_f32 v6, v4, 0x3f5db3d7, v44
	v_fmac_f32_e32 v2, 0x3f5db3d7, v12
	v_fmac_f32_e32 v8, 0x3f5db3d7, v1
	v_lshlrev_b32_sdwa v1, v9, v23 dst_sel:DWORD dst_unused:UNUSED_PAD src0_sel:DWORD src1_sel:WORD_0
	v_lshlrev_b32_sdwa v7, v9, v48 dst_sel:DWORD dst_unused:UNUSED_PAD src0_sel:DWORD src1_sel:WORD_0
	v_fmamk_f32 v4, v4, 0xbf5db3d7, v44
	v_add_f32_e32 v9, v3, v5
	v_add_f32_e32 v10, v6, v2
	v_sub_f32_e32 v3, v3, v5
	v_add3_u32 v1, 0, v1, v7
	v_add_f32_e32 v11, v4, v8
	v_sub_f32_e32 v2, v6, v2
	v_sub_f32_e32 v4, v4, v8
	ds_write2_b32 v1, v9, v10 offset1:18
	ds_write2_b32 v1, v11, v3 offset0:36 offset1:54
	ds_write2_b32 v1, v2, v4 offset0:72 offset1:90
.LBB0_33:
	s_or_b32 exec_lo, exec_lo, s1
	s_waitcnt lgkmcnt(0)
	s_barrier
	buffer_gl0_inv
	s_and_saveexec_b32 s0, vcc_lo
	s_cbranch_execz .LBB0_35
; %bb.34:
	v_mul_u32_u24_e32 v0, 15, v0
	v_mov_b32_e32 v27, 0
	v_add_nc_u32_e32 v56, 0x200, v46
	v_add_nc_u32_e32 v54, 0x800, v51
	;; [unrolled: 1-line block ×3, first 2 shown]
	v_lshlrev_b32_e32 v8, 3, v0
	v_add_nc_u32_e32 v46, 0x600, v46
	v_add_nc_u32_e32 v60, 0x1600, v51
	v_lshlrev_b64 v[26:27], 3, v[26:27]
	v_add_nc_u32_e32 v62, 0xc00, v51
	s_clause 0x7
	global_load_dwordx4 v[47:50], v8, s[8:9] offset:872
	global_load_dwordx2 v[52:53], v8, s[8:9] offset:952
	global_load_dwordx4 v[20:23], v8, s[8:9] offset:936
	global_load_dwordx4 v[16:19], v8, s[8:9] offset:840
	;; [unrolled: 1-line block ×6, first 2 shown]
	v_add_co_u32 v64, vcc_lo, s2, v24
	ds_read2_b32 v[44:45], v51 offset1:108
	v_add_nc_u32_e32 v51, 0x1400, v51
	v_add_co_ci_u32_e32 v65, vcc_lo, s3, v25, vcc_lo
	ds_read2_b32 v[24:25], v54 offset0:136 offset1:244
	ds_read2_b32 v[54:55], v46 offset0:48 offset1:156
	;; [unrolled: 1-line block ×6, first 2 shown]
	v_add_co_u32 v26, vcc_lo, v64, v26
	v_add_co_ci_u32_e32 v27, vcc_lo, v65, v27, vcc_lo
	ds_read2_b32 v[64:65], v51 offset0:16 offset1:124
	v_add_co_u32 v66, vcc_lo, 0x800, v26
	v_add_co_ci_u32_e32 v67, vcc_lo, 0, v27, vcc_lo
	v_add_co_u32 v68, vcc_lo, 0x1000, v26
	v_add_co_ci_u32_e32 v69, vcc_lo, 0, v27, vcc_lo
	;; [unrolled: 2-line block ×6, first 2 shown]
	s_waitcnt vmcnt(7)
	v_mul_f32_e32 v46, v40, v49
	v_mul_f32_e32 v40, v40, v50
	;; [unrolled: 1-line block ×4, first 2 shown]
	s_waitcnt vmcnt(6)
	v_mul_f32_e32 v78, v43, v52
	v_mul_f32_e32 v43, v43, v53
	s_waitcnt vmcnt(5)
	v_mul_f32_e32 v79, v42, v22
	v_mul_f32_e32 v42, v42, v23
	;; [unrolled: 3-line block ×3, first 2 shown]
	v_mul_f32_e32 v39, v39, v21
	s_waitcnt vmcnt(3)
	v_mul_f32_e32 v82, v34, v15
	s_waitcnt lgkmcnt(4)
	v_mul_f32_e32 v19, v56, v19
	s_waitcnt lgkmcnt(3)
	v_mul_f32_e32 v15, v58, v15
	v_mul_f32_e32 v83, v29, v17
	;; [unrolled: 1-line block ×4, first 2 shown]
	s_waitcnt lgkmcnt(1)
	v_mul_f32_e32 v13, v63, v13
	v_fmac_f32_e32 v46, v24, v50
	v_fma_f32 v24, v24, v49, -v40
	v_fmac_f32_e32 v51, v55, v48
	v_fma_f32 v37, v55, v47, -v37
	s_waitcnt vmcnt(2)
	v_mul_f32_e32 v40, v31, v5
	s_waitcnt vmcnt(1)
	v_mul_f32_e32 v47, v41, v0
	v_mul_f32_e32 v41, v41, v1
	;; [unrolled: 1-line block ×3, first 2 shown]
	s_waitcnt vmcnt(0)
	v_mul_f32_e32 v48, v35, v9
	v_mul_f32_e32 v49, v36, v6
	;; [unrolled: 1-line block ×6, first 2 shown]
	v_fma_f32 v43, v61, v52, -v43
	v_mul_f32_e32 v52, v32, v3
	v_mul_f32_e32 v3, v62, v3
	v_fmac_f32_e32 v78, v61, v53
	v_fmac_f32_e32 v79, v60, v23
	v_fma_f32 v22, v60, v22, -v42
	s_waitcnt lgkmcnt(0)
	v_fmac_f32_e32 v81, v65, v21
	v_fma_f32 v20, v65, v20, -v39
	v_fma_f32 v21, v56, v18, -v80
	v_fmac_f32_e32 v19, v30, v18
	v_fma_f32 v18, v45, v16, -v83
	v_fmac_f32_e32 v17, v29, v16
	v_fma_f32 v16, v58, v14, -v82
	v_fma_f32 v23, v63, v12, -v84
	v_fmac_f32_e32 v15, v34, v14
	v_fmac_f32_e32 v13, v33, v12
	v_fma_f32 v12, v57, v4, -v40
	v_fmac_f32_e32 v47, v25, v1
	v_fma_f32 v0, v25, v0, -v41
	v_fmac_f32_e32 v5, v31, v4
	v_fma_f32 v1, v59, v8, -v48
	v_fma_f32 v4, v62, v2, -v52
	v_fmac_f32_e32 v49, v54, v7
	v_fmac_f32_e32 v50, v64, v11
	;; [unrolled: 1-line block ×3, first 2 shown]
	v_fma_f32 v6, v54, v6, -v36
	v_fma_f32 v7, v64, v10, -v38
	v_fmac_f32_e32 v3, v32, v2
	v_sub_f32_e32 v2, v21, v16
	v_sub_f32_e32 v8, v46, v79
	;; [unrolled: 1-line block ×18, first 2 shown]
	v_add_f32_e32 v30, v14, v11
	v_sub_f32_e32 v31, v1, v15
	v_sub_f32_e32 v32, v16, v22
	v_add_f32_e32 v33, v9, v23
	v_add_f32_e32 v34, v13, v20
	;; [unrolled: 1-line block ×3, first 2 shown]
	v_fma_f32 v36, v44, 2.0, -v4
	v_fma_f32 v6, v6, 2.0, -v7
	;; [unrolled: 1-line block ×16, first 2 shown]
	v_fmamk_f32 v23, v25, 0x3f3504f3, v29
	v_fmamk_f32 v24, v31, 0x3f3504f3, v32
	;; [unrolled: 1-line block ×4, first 2 shown]
	v_sub_f32_e32 v6, v36, v6
	v_sub_f32_e32 v8, v7, v8
	;; [unrolled: 1-line block ×8, first 2 shown]
	v_fma_f32 v38, v4, 2.0, -v29
	v_fma_f32 v4, v2, 2.0, -v25
	;; [unrolled: 1-line block ×8, first 2 shown]
	v_fmac_f32_e32 v23, 0xbf3504f3, v30
	v_fmac_f32_e32 v24, 0xbf3504f3, v33
	;; [unrolled: 1-line block ×4, first 2 shown]
	v_sub_f32_e32 v25, v6, v8
	v_sub_f32_e32 v30, v19, v15
	v_add_f32_e32 v31, v0, v20
	v_add_f32_e32 v33, v11, v10
	v_fmamk_f32 v41, v4, 0xbf3504f3, v38
	v_fmamk_f32 v42, v39, 0xbf3504f3, v16
	;; [unrolled: 1-line block ×4, first 2 shown]
	v_fma_f32 v36, v36, 2.0, -v6
	v_fma_f32 v11, v21, 2.0, -v11
	v_fma_f32 v17, v17, 2.0, -v20
	v_fma_f32 v5, v5, 2.0, -v15
	v_fma_f32 v15, v22, 2.0, -v10
	v_fma_f32 v7, v7, 2.0, -v8
	v_fma_f32 v18, v18, 2.0, -v19
	v_fma_f32 v8, v12, 2.0, -v0
	v_fmamk_f32 v1, v24, 0x3f6c835e, v23
	v_fmamk_f32 v0, v28, 0x3f6c835e, v37
	;; [unrolled: 1-line block ×4, first 2 shown]
	v_fmac_f32_e32 v41, 0xbf3504f3, v14
	v_fmac_f32_e32 v42, 0xbf3504f3, v9
	;; [unrolled: 1-line block ×4, first 2 shown]
	v_sub_f32_e32 v21, v36, v11
	v_sub_f32_e32 v12, v17, v5
	;; [unrolled: 1-line block ×4, first 2 shown]
	v_fma_f32 v39, v6, 2.0, -v25
	v_fma_f32 v19, v19, 2.0, -v30
	;; [unrolled: 1-line block ×8, first 2 shown]
	v_fmac_f32_e32 v1, 0xbec3ef15, v28
	v_fmac_f32_e32 v0, 0x3ec3ef15, v24
	;; [unrolled: 1-line block ×4, first 2 shown]
	v_sub_f32_e32 v7, v21, v12
	v_fmamk_f32 v11, v19, 0xbf3504f3, v39
	v_fmamk_f32 v10, v20, 0xbf3504f3, v45
	v_fma_f32 v28, v38, 2.0, -v41
	v_fma_f32 v24, v16, 2.0, -v42
	;; [unrolled: 1-line block ×8, first 2 shown]
	v_fmamk_f32 v9, v32, 0xbec3ef15, v29
	v_fmamk_f32 v8, v34, 0xbec3ef15, v35
	;; [unrolled: 1-line block ×4, first 2 shown]
	v_add_f32_e32 v6, v22, v14
	v_fma_f32 v17, v21, 2.0, -v7
	v_fmac_f32_e32 v11, 0xbf3504f3, v20
	v_fmac_f32_e32 v10, 0x3f3504f3, v19
	v_fmamk_f32 v19, v24, 0xbf6c835e, v28
	v_fmamk_f32 v18, v30, 0xbf6c835e, v31
	v_sub_f32_e32 v21, v36, v38
	v_sub_f32_e32 v20, v40, v46
	v_fmac_f32_e32 v9, 0xbf6c835e, v34
	v_fmac_f32_e32 v8, 0x3f6c835e, v32
	;; [unrolled: 1-line block ×4, first 2 shown]
	v_fma_f32 v15, v25, 2.0, -v3
	v_fma_f32 v16, v22, 2.0, -v6
	v_fmac_f32_e32 v19, 0xbec3ef15, v30
	v_fmac_f32_e32 v18, 0x3ec3ef15, v24
	v_fma_f32 v25, v36, 2.0, -v21
	v_fma_f32 v24, v40, 2.0, -v20
	;; [unrolled: 1-line block ×7, first 2 shown]
	global_store_dwordx2 v[74:75], v[6:7], off offset:128
	global_store_dwordx2 v[74:75], v[2:3], off offset:1856
	v_fma_f32 v7, v29, 2.0, -v9
	v_fma_f32 v6, v35, 2.0, -v8
	;; [unrolled: 1-line block ×4, first 2 shown]
	global_store_dwordx2 v[66:67], v[16:17], off offset:1408
	global_store_dwordx2 v[68:69], v[14:15], off offset:1088
	;; [unrolled: 1-line block ×7, first 2 shown]
	v_fma_f32 v5, v28, 2.0, -v19
	v_fma_f32 v4, v31, 2.0, -v18
	global_store_dwordx2 v[26:27], v[24:25], off
	global_store_dwordx2 v[26:27], v[22:23], off offset:1728
	global_store_dwordx2 v[66:67], v[6:7], off offset:544
	;; [unrolled: 1-line block ×6, first 2 shown]
.LBB0_35:
	s_endpgm
	.section	.rodata,"a",@progbits
	.p2align	6, 0x0
	.amdhsa_kernel fft_rtc_back_len1728_factors_3_6_6_16_wgs_108_tpt_108_halfLds_sp_ip_CI_unitstride_sbrr_dirReg
		.amdhsa_group_segment_fixed_size 0
		.amdhsa_private_segment_fixed_size 0
		.amdhsa_kernarg_size 88
		.amdhsa_user_sgpr_count 6
		.amdhsa_user_sgpr_private_segment_buffer 1
		.amdhsa_user_sgpr_dispatch_ptr 0
		.amdhsa_user_sgpr_queue_ptr 0
		.amdhsa_user_sgpr_kernarg_segment_ptr 1
		.amdhsa_user_sgpr_dispatch_id 0
		.amdhsa_user_sgpr_flat_scratch_init 0
		.amdhsa_user_sgpr_private_segment_size 0
		.amdhsa_wavefront_size32 1
		.amdhsa_uses_dynamic_stack 0
		.amdhsa_system_sgpr_private_segment_wavefront_offset 0
		.amdhsa_system_sgpr_workgroup_id_x 1
		.amdhsa_system_sgpr_workgroup_id_y 0
		.amdhsa_system_sgpr_workgroup_id_z 0
		.amdhsa_system_sgpr_workgroup_info 0
		.amdhsa_system_vgpr_workitem_id 0
		.amdhsa_next_free_vgpr 87
		.amdhsa_next_free_sgpr 21
		.amdhsa_reserve_vcc 1
		.amdhsa_reserve_flat_scratch 0
		.amdhsa_float_round_mode_32 0
		.amdhsa_float_round_mode_16_64 0
		.amdhsa_float_denorm_mode_32 3
		.amdhsa_float_denorm_mode_16_64 3
		.amdhsa_dx10_clamp 1
		.amdhsa_ieee_mode 1
		.amdhsa_fp16_overflow 0
		.amdhsa_workgroup_processor_mode 1
		.amdhsa_memory_ordered 1
		.amdhsa_forward_progress 0
		.amdhsa_shared_vgpr_count 0
		.amdhsa_exception_fp_ieee_invalid_op 0
		.amdhsa_exception_fp_denorm_src 0
		.amdhsa_exception_fp_ieee_div_zero 0
		.amdhsa_exception_fp_ieee_overflow 0
		.amdhsa_exception_fp_ieee_underflow 0
		.amdhsa_exception_fp_ieee_inexact 0
		.amdhsa_exception_int_div_zero 0
	.end_amdhsa_kernel
	.text
.Lfunc_end0:
	.size	fft_rtc_back_len1728_factors_3_6_6_16_wgs_108_tpt_108_halfLds_sp_ip_CI_unitstride_sbrr_dirReg, .Lfunc_end0-fft_rtc_back_len1728_factors_3_6_6_16_wgs_108_tpt_108_halfLds_sp_ip_CI_unitstride_sbrr_dirReg
                                        ; -- End function
	.section	.AMDGPU.csdata,"",@progbits
; Kernel info:
; codeLenInByte = 8144
; NumSgprs: 23
; NumVgprs: 87
; ScratchSize: 0
; MemoryBound: 0
; FloatMode: 240
; IeeeMode: 1
; LDSByteSize: 0 bytes/workgroup (compile time only)
; SGPRBlocks: 2
; VGPRBlocks: 10
; NumSGPRsForWavesPerEU: 23
; NumVGPRsForWavesPerEU: 87
; Occupancy: 10
; WaveLimiterHint : 1
; COMPUTE_PGM_RSRC2:SCRATCH_EN: 0
; COMPUTE_PGM_RSRC2:USER_SGPR: 6
; COMPUTE_PGM_RSRC2:TRAP_HANDLER: 0
; COMPUTE_PGM_RSRC2:TGID_X_EN: 1
; COMPUTE_PGM_RSRC2:TGID_Y_EN: 0
; COMPUTE_PGM_RSRC2:TGID_Z_EN: 0
; COMPUTE_PGM_RSRC2:TIDIG_COMP_CNT: 0
	.text
	.p2alignl 6, 3214868480
	.fill 48, 4, 3214868480
	.type	__hip_cuid_8509295a3b42468,@object ; @__hip_cuid_8509295a3b42468
	.section	.bss,"aw",@nobits
	.globl	__hip_cuid_8509295a3b42468
__hip_cuid_8509295a3b42468:
	.byte	0                               ; 0x0
	.size	__hip_cuid_8509295a3b42468, 1

	.ident	"AMD clang version 19.0.0git (https://github.com/RadeonOpenCompute/llvm-project roc-6.4.0 25133 c7fe45cf4b819c5991fe208aaa96edf142730f1d)"
	.section	".note.GNU-stack","",@progbits
	.addrsig
	.addrsig_sym __hip_cuid_8509295a3b42468
	.amdgpu_metadata
---
amdhsa.kernels:
  - .args:
      - .actual_access:  read_only
        .address_space:  global
        .offset:         0
        .size:           8
        .value_kind:     global_buffer
      - .offset:         8
        .size:           8
        .value_kind:     by_value
      - .actual_access:  read_only
        .address_space:  global
        .offset:         16
        .size:           8
        .value_kind:     global_buffer
      - .actual_access:  read_only
        .address_space:  global
        .offset:         24
        .size:           8
        .value_kind:     global_buffer
      - .offset:         32
        .size:           8
        .value_kind:     by_value
      - .actual_access:  read_only
        .address_space:  global
        .offset:         40
        .size:           8
        .value_kind:     global_buffer
      - .actual_access:  read_only
        .address_space:  global
        .offset:         48
        .size:           8
        .value_kind:     global_buffer
      - .offset:         56
        .size:           4
        .value_kind:     by_value
      - .actual_access:  read_only
        .address_space:  global
        .offset:         64
        .size:           8
        .value_kind:     global_buffer
      - .actual_access:  read_only
        .address_space:  global
        .offset:         72
        .size:           8
        .value_kind:     global_buffer
      - .address_space:  global
        .offset:         80
        .size:           8
        .value_kind:     global_buffer
    .group_segment_fixed_size: 0
    .kernarg_segment_align: 8
    .kernarg_segment_size: 88
    .language:       OpenCL C
    .language_version:
      - 2
      - 0
    .max_flat_workgroup_size: 108
    .name:           fft_rtc_back_len1728_factors_3_6_6_16_wgs_108_tpt_108_halfLds_sp_ip_CI_unitstride_sbrr_dirReg
    .private_segment_fixed_size: 0
    .sgpr_count:     23
    .sgpr_spill_count: 0
    .symbol:         fft_rtc_back_len1728_factors_3_6_6_16_wgs_108_tpt_108_halfLds_sp_ip_CI_unitstride_sbrr_dirReg.kd
    .uniform_work_group_size: 1
    .uses_dynamic_stack: false
    .vgpr_count:     87
    .vgpr_spill_count: 0
    .wavefront_size: 32
    .workgroup_processor_mode: 1
amdhsa.target:   amdgcn-amd-amdhsa--gfx1030
amdhsa.version:
  - 1
  - 2
...

	.end_amdgpu_metadata
